;; amdgpu-corpus repo=ROCm/bitsandbytes kind=harvested arch=n/a opt=n/a
	.text
	.amdgcn_target "amdgcn-amd-amdhsa--gfx942"
	.amdhsa_code_object_version 6
	.protected	_Z33kPreconditionOptimizer32bit1StateI12hip_bfloat16Li2ELi4096ELi8EEvPT_S2_PfS3_ffffiffi ; -- Begin function _Z33kPreconditionOptimizer32bit1StateI12hip_bfloat16Li2ELi4096ELi8EEvPT_S2_PfS3_ffffiffi
	.globl	_Z33kPreconditionOptimizer32bit1StateI12hip_bfloat16Li2ELi4096ELi8EEvPT_S2_PfS3_ffffiffi
	.p2align	8
	.type	_Z33kPreconditionOptimizer32bit1StateI12hip_bfloat16Li2ELi4096ELi8EEvPT_S2_PfS3_ffffiffi,@function
_Z33kPreconditionOptimizer32bit1StateI12hip_bfloat16Li2ELi4096ELi8EEvPT_S2_PfS3_ffffiffi: ; @_Z33kPreconditionOptimizer32bit1StateI12hip_bfloat16Li2ELi4096ELi8EEvPT_S2_PfS3_ffffiffi
; %bb.0:
	s_load_dwordx2 s[24:25], s[0:1], 0x38
	s_load_dword s3, s[0:1], 0x4c
	s_mov_b32 s27, 0
	s_waitcnt lgkmcnt(0)
	s_ashr_i32 s4, s25, 31
	s_lshr_b32 s4, s4, 20
	s_add_i32 s4, s25, s4
	s_and_b32 s5, s25, 0xfff
	s_and_b32 s6, s4, 0xfffff000
	s_cmp_lg_u32 s5, 0
	s_cselect_b64 s[4:5], -1, 0
	v_cndmask_b32_e64 v1, 0, 1, s[4:5]
	s_nop 0
	v_readfirstlane_b32 s4, v1
	s_lshl_b32 s28, s4, 12
	s_add_i32 s28, s28, s6
	s_add_u32 s4, s0, 64
	s_addc_u32 s5, s1, 0
	s_and_b32 s3, s3, 0xffff
	s_mul_i32 s2, s2, s3
	s_lshl_b32 s26, s2, 3
	s_cmp_ge_u32 s26, s28
	s_cbranch_scc1 .LBB43_76
; %bb.1:
	v_mbcnt_lo_u32_b32 v1, -1, 0
	v_lshlrev_b32_e32 v2, 3, v0
	v_mbcnt_hi_u32_b32 v1, -1, v1
	v_and_b32_e32 v6, 0xe00, v2
	s_load_dwordx2 s[2:3], s[0:1], 0x0
	s_load_dwordx4 s[20:23], s[0:1], 0x10
	s_load_dword s29, s[0:1], 0x20
	s_load_dword s30, s[0:1], 0x28
	;; [unrolled: 1-line block ×3, first 2 shown]
	v_lshlrev_b32_e32 v2, 1, v1
	v_mov_b32_e32 v3, 0
	v_or_b32_e32 v20, v1, v6
	s_waitcnt lgkmcnt(0)
	v_lshl_add_u64 v[4:5], s[2:3], 0, v[2:3]
	v_lshlrev_b32_e32 v2, 1, v6
	v_add_u32_e32 v21, 64, v20
	v_lshrrev_b32_e32 v8, 5, v20
	v_lshl_add_u64 v[16:17], v[4:5], 0, v[2:3]
	v_or_b32_e32 v22, 0x80, v20
	v_and_b32_e32 v2, 0x72, v8
	v_lshrrev_b32_e32 v9, 5, v21
	v_add_u32_e32 v23, 0xc0, v20
	v_add_lshl_u32 v28, v2, v20, 1
	v_and_b32_e32 v2, 0x76, v9
	v_lshrrev_b32_e32 v10, 5, v22
	v_or_b32_e32 v24, 0x100, v20
	v_add_lshl_u32 v29, v2, v21, 1
	v_and_b32_e32 v2, 0x76, v10
	v_lshrrev_b32_e32 v11, 5, v23
	v_add_u32_e32 v25, 0x140, v20
	v_add_lshl_u32 v30, v2, v22, 1
	v_and_b32_e32 v2, 0x7e, v11
	v_lshrrev_b32_e32 v12, 5, v24
	v_or_b32_e32 v26, 0x180, v20
	v_add_lshl_u32 v31, v2, v23, 1
	v_and_b32_e32 v2, 0x7a, v12
	v_lshrrev_b32_e32 v13, 5, v25
	v_add_u32_e32 v27, 0x1c0, v20
	v_add_lshl_u32 v32, v2, v24, 1
	v_and_b32_e32 v2, 0x7e, v13
	v_lshrrev_b32_e32 v14, 5, v26
	v_add_lshl_u32 v33, v2, v25, 1
	v_and_b32_e32 v2, 0x7e, v14
	v_lshrrev_b32_e32 v15, 5, v27
	v_add_lshl_u32 v34, v2, v26, 1
	v_and_b32_e32 v2, 0xfe, v15
	v_and_b32_e32 v36, 0x1c0, v0
	v_add_lshl_u32 v35, v2, v27, 1
	v_add_u32_e32 v2, v1, v36
	v_bfe_u32 v47, v2, 2, 27
	v_lshlrev_b32_e32 v46, 3, v2
	v_and_b32_e32 v2, 0xfe, v47
	v_add_lshl_u32 v37, v2, v46, 1
	v_lshlrev_b32_e32 v2, 2, v1
	v_lshl_add_u64 v[4:5], s[20:21], 0, v[2:3]
	v_lshlrev_b32_e32 v6, 2, v6
	v_mov_b32_e32 v7, v3
	v_lshl_add_u64 v[18:19], v[4:5], 0, v[6:7]
	v_and_b32_e32 v4, 63, v1
	v_cmp_ne_u32_e32 vcc, 63, v4
	v_add_lshl_u32 v38, v8, v20, 2
	v_add_lshl_u32 v39, v9, v21, 2
	v_addc_co_u32_e32 v5, vcc, 0, v1, vcc
	v_cmp_gt_u32_e32 vcc, 62, v4
	v_lshlrev_b32_e32 v48, 2, v5
	v_add_lshl_u32 v40, v10, v22, 2
	v_cndmask_b32_e64 v5, 0, 1, vcc
	v_lshlrev_b32_e32 v5, 1, v5
	v_cmp_gt_u32_e32 vcc, 60, v4
	v_add_lshl_u32 v50, v5, v1, 2
	v_add_lshl_u32 v41, v11, v23, 2
	v_cndmask_b32_e64 v5, 0, 1, vcc
	v_lshlrev_b32_e32 v5, 2, v5
	v_cmp_gt_u32_e32 vcc, 56, v4
	v_add_lshl_u32 v52, v5, v1, 2
	;; [unrolled: 5-line block ×3, first 2 shown]
	v_add_lshl_u32 v43, v13, v25, 2
	v_cndmask_b32_e64 v5, 0, 1, vcc
	v_cmp_gt_u32_e32 vcc, 32, v4
	v_lshlrev_b32_e32 v5, 4, v5
	v_add_lshl_u32 v56, v5, v1, 2
	v_cndmask_b32_e64 v4, 0, 1, vcc
	v_lshlrev_b32_e32 v4, 5, v4
	v_add_lshl_u32 v58, v4, v1, 2
	v_lshrrev_b32_e32 v4, 4, v0
	v_and_b32_e32 v60, 28, v4
	v_and_b32_e32 v4, 7, v1
	v_cmp_ne_u32_e32 vcc, 7, v4
	v_add_u32_e32 v61, 1, v4
	v_add_u32_e32 v63, 2, v4
	v_addc_co_u32_e32 v5, vcc, 0, v1, vcc
	v_cmp_gt_u32_e32 vcc, 6, v4
	v_lshlrev_b32_e32 v62, 2, v5
	v_add_u32_e32 v65, 4, v4
	v_cndmask_b32_e64 v5, 0, 1, vcc
	v_cmp_gt_u32_e32 vcc, 4, v4
	v_lshlrev_b32_e32 v5, 1, v5
	v_add_lshl_u32 v44, v14, v26, 2
	v_cndmask_b32_e64 v4, 0, 1, vcc
	v_lshlrev_b32_e32 v4, 2, v4
	v_add_lshl_u32 v45, v15, v27, 2
	v_add_lshl_u32 v46, v47, v46, 2
	v_sub_f32_e64 v47, 1.0, s29
	v_add_u32_e32 v49, 1, v1
	v_add_u32_e32 v51, 2, v1
	;; [unrolled: 1-line block ×6, first 2 shown]
	v_cmp_eq_u32_e64 s[0:1], 0, v1
	v_cmp_gt_u32_e64 s[2:3], 8, v0
	v_add_lshl_u32 v64, v5, v1, 2
	v_add_lshl_u32 v66, v4, v1, 2
	v_cmp_eq_u32_e64 s[4:5], 0, v0
	s_lshl_b32 s31, s6, 12
	s_mov_b32 s33, 0x7f800000
	s_movk_i32 s34, 0x7fff
	s_mov_b32 s35, 0xf800000
	v_mov_b32_e32 v67, 0x260
	s_branch .LBB43_3
.LBB43_2:                               ;   in Loop: Header=BB43_3 Depth=1
	s_or_b64 exec, exec, s[6:7]
	s_add_i32 s26, s26, s31
	s_cmp_ge_u32 s26, s28
	s_cbranch_scc1 .LBB43_76
.LBB43_3:                               ; =>This Loop Header: Depth=1
                                        ;     Child Loop BB43_66 Depth 2
	s_sub_i32 s6, s25, s26
	s_min_u32 s36, s6, 0x1000
	v_lshl_add_u64 v[0:1], s[26:27], 1, v[16:17]
	v_cmp_gt_u32_e64 s[18:19], s36, v20
	v_mov_b32_e32 v4, 0
	s_barrier
	s_and_saveexec_b64 s[6:7], s[18:19]
	s_cbranch_execz .LBB43_5
; %bb.4:                                ;   in Loop: Header=BB43_3 Depth=1
	global_load_ushort v4, v[0:1], off
.LBB43_5:                               ;   in Loop: Header=BB43_3 Depth=1
	s_or_b64 exec, exec, s[6:7]
	v_cmp_gt_u32_e64 s[14:15], s36, v21
	v_mov_b32_e32 v5, 0
	v_mov_b32_e32 v6, 0
	s_and_saveexec_b64 s[6:7], s[14:15]
	s_cbranch_execz .LBB43_7
; %bb.6:                                ;   in Loop: Header=BB43_3 Depth=1
	global_load_ushort v6, v[0:1], off offset:128
.LBB43_7:                               ;   in Loop: Header=BB43_3 Depth=1
	s_or_b64 exec, exec, s[6:7]
	v_cmp_gt_u32_e64 s[16:17], s36, v22
	s_and_saveexec_b64 s[6:7], s[16:17]
	s_cbranch_execz .LBB43_9
; %bb.8:                                ;   in Loop: Header=BB43_3 Depth=1
	global_load_ushort v5, v[0:1], off offset:256
.LBB43_9:                               ;   in Loop: Header=BB43_3 Depth=1
	s_or_b64 exec, exec, s[6:7]
	v_cmp_gt_u32_e64 s[10:11], s36, v23
	v_mov_b32_e32 v7, 0
	v_mov_b32_e32 v8, 0
	s_and_saveexec_b64 s[6:7], s[10:11]
	s_cbranch_execz .LBB43_11
; %bb.10:                               ;   in Loop: Header=BB43_3 Depth=1
	global_load_ushort v8, v[0:1], off offset:384
.LBB43_11:                              ;   in Loop: Header=BB43_3 Depth=1
	s_or_b64 exec, exec, s[6:7]
	v_cmp_gt_u32_e64 s[12:13], s36, v24
	s_and_saveexec_b64 s[6:7], s[12:13]
	s_cbranch_execz .LBB43_13
; %bb.12:                               ;   in Loop: Header=BB43_3 Depth=1
	global_load_ushort v7, v[0:1], off offset:512
.LBB43_13:                              ;   in Loop: Header=BB43_3 Depth=1
	s_or_b64 exec, exec, s[6:7]
	v_cmp_gt_u32_e64 s[6:7], s36, v25
	v_mov_b32_e32 v9, 0
	v_mov_b32_e32 v10, 0
	s_and_saveexec_b64 s[8:9], s[6:7]
	s_cbranch_execz .LBB43_15
; %bb.14:                               ;   in Loop: Header=BB43_3 Depth=1
	global_load_ushort v10, v[0:1], off offset:640
.LBB43_15:                              ;   in Loop: Header=BB43_3 Depth=1
	s_or_b64 exec, exec, s[8:9]
	v_cmp_gt_u32_e64 s[8:9], s36, v26
	s_and_saveexec_b64 s[20:21], s[8:9]
	s_cbranch_execz .LBB43_17
; %bb.16:                               ;   in Loop: Header=BB43_3 Depth=1
	global_load_ushort v9, v[0:1], off offset:768
.LBB43_17:                              ;   in Loop: Header=BB43_3 Depth=1
	s_or_b64 exec, exec, s[20:21]
	v_cmp_gt_u32_e32 vcc, s36, v27
	v_mov_b32_e32 v68, 0
	v_mov_b32_e32 v11, 0
	s_and_saveexec_b64 s[20:21], vcc
	s_cbranch_execz .LBB43_19
; %bb.18:                               ;   in Loop: Header=BB43_3 Depth=1
	global_load_ushort v11, v[0:1], off offset:896
.LBB43_19:                              ;   in Loop: Header=BB43_3 Depth=1
	s_or_b64 exec, exec, s[20:21]
	s_waitcnt vmcnt(0)
	ds_write_b16 v28, v4
	ds_write_b16 v29, v6
	;; [unrolled: 1-line block ×8, first 2 shown]
	; wave barrier
	ds_read_b128 v[12:15], v37
	s_mov_b32 s40, s27
	s_mov_b32 s41, s27
	;; [unrolled: 1-line block ×8, first 2 shown]
	v_mov_b64_e32 v[4:5], s[40:41]
	v_lshl_add_u64 v[0:1], s[26:27], 2, v[18:19]
	v_mov_b64_e32 v[6:7], s[42:43]
	v_mov_b64_e32 v[8:9], s[44:45]
	;; [unrolled: 1-line block ×3, first 2 shown]
	s_waitcnt lgkmcnt(0)
	s_barrier
	s_and_saveexec_b64 s[20:21], s[18:19]
	s_cbranch_execnz .LBB43_69
; %bb.20:                               ;   in Loop: Header=BB43_3 Depth=1
	s_or_b64 exec, exec, s[20:21]
	s_and_saveexec_b64 s[18:19], s[14:15]
	s_cbranch_execnz .LBB43_70
.LBB43_21:                              ;   in Loop: Header=BB43_3 Depth=1
	s_or_b64 exec, exec, s[18:19]
	s_and_saveexec_b64 s[14:15], s[16:17]
	s_cbranch_execnz .LBB43_71
.LBB43_22:                              ;   in Loop: Header=BB43_3 Depth=1
	s_or_b64 exec, exec, s[14:15]
	s_and_saveexec_b64 s[14:15], s[10:11]
	s_cbranch_execnz .LBB43_72
.LBB43_23:                              ;   in Loop: Header=BB43_3 Depth=1
	s_or_b64 exec, exec, s[14:15]
	s_and_saveexec_b64 s[10:11], s[12:13]
	s_cbranch_execnz .LBB43_73
.LBB43_24:                              ;   in Loop: Header=BB43_3 Depth=1
	s_or_b64 exec, exec, s[10:11]
	s_and_saveexec_b64 s[10:11], s[6:7]
	s_cbranch_execnz .LBB43_74
.LBB43_25:                              ;   in Loop: Header=BB43_3 Depth=1
	s_or_b64 exec, exec, s[10:11]
	s_and_saveexec_b64 s[6:7], s[8:9]
	s_cbranch_execnz .LBB43_75
.LBB43_26:                              ;   in Loop: Header=BB43_3 Depth=1
	s_or_b64 exec, exec, s[6:7]
	s_and_saveexec_b64 s[6:7], vcc
	s_cbranch_execz .LBB43_28
.LBB43_27:                              ;   in Loop: Header=BB43_3 Depth=1
	global_load_dword v11, v[0:1], off offset:1792
.LBB43_28:                              ;   in Loop: Header=BB43_3 Depth=1
	s_or_b64 exec, exec, s[6:7]
	s_waitcnt vmcnt(0)
	ds_write_b32 v38, v68
	ds_write_b32 v39, v5
	;; [unrolled: 1-line block ×8, first 2 shown]
	; wave barrier
	ds_read2_b32 v[8:9], v46 offset1:1
	ds_read2_b32 v[6:7], v46 offset0:2 offset1:3
	ds_read2_b32 v[4:5], v46 offset0:4 offset1:5
	;; [unrolled: 1-line block ×3, first 2 shown]
	v_lshlrev_b32_e32 v10, 16, v12
	v_mul_f32_e32 v11, s24, v10
	v_and_b32_e32 v10, 0x7f800000, v11
	v_cmp_ne_u32_e32 vcc, s33, v10
                                        ; implicit-def: $vgpr10
	s_and_saveexec_b64 s[6:7], vcc
	s_xor_b64 s[6:7], exec, s[6:7]
; %bb.29:                               ;   in Loop: Header=BB43_3 Depth=1
	v_bfe_u32 v10, v11, 16, 1
	v_add3_u32 v10, v11, v10, s34
                                        ; implicit-def: $vgpr11
; %bb.30:                               ;   in Loop: Header=BB43_3 Depth=1
	s_andn2_saveexec_b64 s[6:7], s[6:7]
; %bb.31:                               ;   in Loop: Header=BB43_3 Depth=1
	v_or_b32_e32 v10, 0x10000, v11
	v_cmp_eq_u32_sdwa vcc, v11, v3 src0_sel:WORD_0 src1_sel:DWORD
	s_nop 1
	v_cndmask_b32_e32 v10, v10, v11, vcc
; %bb.32:                               ;   in Loop: Header=BB43_3 Depth=1
	s_or_b64 exec, exec, s[6:7]
	v_and_b32_e32 v11, 0xffff0000, v12
	v_mul_f32_e32 v12, s24, v11
	v_and_b32_e32 v11, 0x7f800000, v12
	v_cmp_ne_u32_e32 vcc, s33, v11
                                        ; implicit-def: $vgpr11
	s_and_saveexec_b64 s[6:7], vcc
	s_xor_b64 s[6:7], exec, s[6:7]
; %bb.33:                               ;   in Loop: Header=BB43_3 Depth=1
	v_bfe_u32 v11, v12, 16, 1
	v_add3_u32 v11, v12, v11, s34
                                        ; implicit-def: $vgpr12
; %bb.34:                               ;   in Loop: Header=BB43_3 Depth=1
	s_andn2_saveexec_b64 s[6:7], s[6:7]
; %bb.35:                               ;   in Loop: Header=BB43_3 Depth=1
	v_or_b32_e32 v11, 0x10000, v12
	v_cmp_eq_u32_sdwa vcc, v12, v3 src0_sel:WORD_0 src1_sel:DWORD
	s_nop 1
	v_cndmask_b32_e32 v11, v11, v12, vcc
; %bb.36:                               ;   in Loop: Header=BB43_3 Depth=1
	s_or_b64 exec, exec, s[6:7]
	v_lshlrev_b32_e32 v12, 16, v13
	v_mul_f32_e32 v68, s24, v12
	v_and_b32_e32 v12, 0x7f800000, v68
	v_cmp_ne_u32_e32 vcc, s33, v12
                                        ; implicit-def: $vgpr12
	s_and_saveexec_b64 s[6:7], vcc
	s_xor_b64 s[6:7], exec, s[6:7]
; %bb.37:                               ;   in Loop: Header=BB43_3 Depth=1
	v_bfe_u32 v12, v68, 16, 1
	v_add3_u32 v12, v68, v12, s34
                                        ; implicit-def: $vgpr68
; %bb.38:                               ;   in Loop: Header=BB43_3 Depth=1
	s_andn2_saveexec_b64 s[6:7], s[6:7]
; %bb.39:                               ;   in Loop: Header=BB43_3 Depth=1
	v_or_b32_e32 v12, 0x10000, v68
	v_cmp_eq_u32_sdwa vcc, v68, v3 src0_sel:WORD_0 src1_sel:DWORD
	s_nop 1
	v_cndmask_b32_e32 v12, v12, v68, vcc
; %bb.40:                               ;   in Loop: Header=BB43_3 Depth=1
	s_or_b64 exec, exec, s[6:7]
	v_and_b32_e32 v13, 0xffff0000, v13
	v_mul_f32_e32 v68, s24, v13
	v_and_b32_e32 v13, 0x7f800000, v68
	v_cmp_ne_u32_e32 vcc, s33, v13
                                        ; implicit-def: $vgpr13
	s_and_saveexec_b64 s[6:7], vcc
	s_xor_b64 s[6:7], exec, s[6:7]
; %bb.41:                               ;   in Loop: Header=BB43_3 Depth=1
	v_bfe_u32 v13, v68, 16, 1
	v_add3_u32 v13, v68, v13, s34
                                        ; implicit-def: $vgpr68
; %bb.42:                               ;   in Loop: Header=BB43_3 Depth=1
	s_andn2_saveexec_b64 s[6:7], s[6:7]
; %bb.43:                               ;   in Loop: Header=BB43_3 Depth=1
	v_or_b32_e32 v13, 0x10000, v68
	v_cmp_eq_u32_sdwa vcc, v68, v3 src0_sel:WORD_0 src1_sel:DWORD
	s_nop 1
	v_cndmask_b32_e32 v13, v13, v68, vcc
; %bb.44:                               ;   in Loop: Header=BB43_3 Depth=1
	s_or_b64 exec, exec, s[6:7]
	v_lshlrev_b32_e32 v68, 16, v14
	v_mul_f32_e32 v69, s24, v68
	v_and_b32_e32 v68, 0x7f800000, v69
	v_cmp_ne_u32_e32 vcc, s33, v68
                                        ; implicit-def: $vgpr68
	s_and_saveexec_b64 s[6:7], vcc
	s_xor_b64 s[6:7], exec, s[6:7]
; %bb.45:                               ;   in Loop: Header=BB43_3 Depth=1
	v_bfe_u32 v68, v69, 16, 1
	v_add3_u32 v68, v69, v68, s34
                                        ; implicit-def: $vgpr69
; %bb.46:                               ;   in Loop: Header=BB43_3 Depth=1
	s_andn2_saveexec_b64 s[6:7], s[6:7]
; %bb.47:                               ;   in Loop: Header=BB43_3 Depth=1
	v_or_b32_e32 v68, 0x10000, v69
	v_cmp_eq_u32_sdwa vcc, v69, v3 src0_sel:WORD_0 src1_sel:DWORD
	s_nop 1
	v_cndmask_b32_e32 v68, v68, v69, vcc
; %bb.48:                               ;   in Loop: Header=BB43_3 Depth=1
	s_or_b64 exec, exec, s[6:7]
	v_and_b32_e32 v14, 0xffff0000, v14
	v_mul_f32_e32 v69, s24, v14
	v_and_b32_e32 v14, 0x7f800000, v69
	v_cmp_ne_u32_e32 vcc, s33, v14
                                        ; implicit-def: $vgpr14
	s_and_saveexec_b64 s[6:7], vcc
	s_xor_b64 s[6:7], exec, s[6:7]
; %bb.49:                               ;   in Loop: Header=BB43_3 Depth=1
	v_bfe_u32 v14, v69, 16, 1
	v_add3_u32 v14, v69, v14, s34
                                        ; implicit-def: $vgpr69
; %bb.50:                               ;   in Loop: Header=BB43_3 Depth=1
	s_andn2_saveexec_b64 s[6:7], s[6:7]
; %bb.51:                               ;   in Loop: Header=BB43_3 Depth=1
	v_or_b32_e32 v14, 0x10000, v69
	v_cmp_eq_u32_sdwa vcc, v69, v3 src0_sel:WORD_0 src1_sel:DWORD
	s_nop 1
	v_cndmask_b32_e32 v14, v14, v69, vcc
; %bb.52:                               ;   in Loop: Header=BB43_3 Depth=1
	s_or_b64 exec, exec, s[6:7]
	v_lshlrev_b32_e32 v69, 16, v15
	v_mul_f32_e32 v70, s24, v69
	v_and_b32_e32 v69, 0x7f800000, v70
	v_cmp_ne_u32_e32 vcc, s33, v69
                                        ; implicit-def: $vgpr69
	s_and_saveexec_b64 s[6:7], vcc
	s_xor_b64 s[6:7], exec, s[6:7]
; %bb.53:                               ;   in Loop: Header=BB43_3 Depth=1
	v_bfe_u32 v69, v70, 16, 1
	v_add3_u32 v69, v70, v69, s34
                                        ; implicit-def: $vgpr70
; %bb.54:                               ;   in Loop: Header=BB43_3 Depth=1
	s_andn2_saveexec_b64 s[6:7], s[6:7]
; %bb.55:                               ;   in Loop: Header=BB43_3 Depth=1
	v_or_b32_e32 v69, 0x10000, v70
	v_cmp_eq_u32_sdwa vcc, v70, v3 src0_sel:WORD_0 src1_sel:DWORD
	s_nop 1
	v_cndmask_b32_e32 v69, v69, v70, vcc
; %bb.56:                               ;   in Loop: Header=BB43_3 Depth=1
	s_or_b64 exec, exec, s[6:7]
	v_and_b32_e32 v15, 0xffff0000, v15
	v_mul_f32_e32 v70, s24, v15
	v_and_b32_e32 v15, 0x7f800000, v70
	v_cmp_ne_u32_e32 vcc, s33, v15
                                        ; implicit-def: $vgpr15
	s_and_saveexec_b64 s[6:7], vcc
	s_xor_b64 s[6:7], exec, s[6:7]
; %bb.57:                               ;   in Loop: Header=BB43_3 Depth=1
	v_bfe_u32 v15, v70, 16, 1
	v_add3_u32 v15, v70, v15, s34
                                        ; implicit-def: $vgpr70
; %bb.58:                               ;   in Loop: Header=BB43_3 Depth=1
	s_andn2_saveexec_b64 s[6:7], s[6:7]
; %bb.59:                               ;   in Loop: Header=BB43_3 Depth=1
	v_or_b32_e32 v15, 0x10000, v70
	v_cmp_eq_u32_sdwa vcc, v70, v3 src0_sel:WORD_0 src1_sel:DWORD
	s_nop 1
	v_cndmask_b32_e32 v15, v15, v70, vcc
; %bb.60:                               ;   in Loop: Header=BB43_3 Depth=1
	s_or_b64 exec, exec, s[6:7]
	v_and_b32_e32 v10, 0xffff0000, v10
	v_mul_f32_e32 v70, v47, v10
	v_mul_f32_e32 v70, v70, v10
	s_waitcnt lgkmcnt(3)
	v_fmac_f32_e32 v70, s29, v8
	v_mul_f32_e32 v8, 0x4f800000, v70
	v_cmp_gt_f32_e32 vcc, s35, v70
	v_and_b32_e32 v11, 0xffff0000, v11
	v_mul_f32_e32 v74, v47, v11
	v_cndmask_b32_e32 v8, v70, v8, vcc
	v_sqrt_f32_e32 v70, v8
	v_mul_f32_e32 v74, v74, v11
	v_fmac_f32_e32 v74, s29, v9
	v_mul_f32_e32 v9, 0x4f800000, v74
	v_add_u32_e32 v71, -1, v70
	v_fma_f32 v72, -v71, v70, v8
	v_cmp_ge_f32_e64 s[6:7], 0, v72
	v_add_u32_e32 v72, 1, v70
	v_and_b32_e32 v12, 0xffff0000, v12
	v_cndmask_b32_e64 v71, v70, v71, s[6:7]
	v_fma_f32 v70, -v72, v70, v8
	v_cmp_lt_f32_e64 s[6:7], 0, v70
	v_and_b32_e32 v13, 0xffff0000, v13
	v_and_b32_e32 v68, 0xffff0000, v68
	v_cndmask_b32_e64 v70, v71, v72, s[6:7]
	v_mul_f32_e32 v71, 0x37800000, v70
	v_cndmask_b32_e32 v70, v70, v71, vcc
	v_cmp_class_f32_e32 vcc, v8, v67
	v_and_b32_e32 v14, 0xffff0000, v14
	v_and_b32_e32 v69, 0xffff0000, v69
	v_cndmask_b32_e32 v8, v70, v8, vcc
	v_add_f32_e32 v8, s30, v8
	v_div_scale_f32 v70, s[6:7], v8, v8, v10
	v_rcp_f32_e32 v71, v70
	v_cmp_gt_f32_e64 s[6:7], s35, v74
	v_and_b32_e32 v15, 0xffff0000, v15
	s_waitcnt lgkmcnt(0)
	v_fma_f32 v72, -v70, v71, 1.0
	v_cndmask_b32_e64 v9, v74, v9, s[6:7]
	v_fmac_f32_e32 v71, v72, v71
	v_div_scale_f32 v72, vcc, v10, v8, v10
	v_sqrt_f32_e32 v74, v9
	v_mul_f32_e32 v73, v72, v71
	v_fma_f32 v75, -v70, v73, v72
	v_fmac_f32_e32 v73, v75, v71
	v_fma_f32 v70, -v70, v73, v72
	v_add_u32_e32 v72, -1, v74
	v_fma_f32 v75, -v72, v74, v9
	v_cmp_ge_f32_e64 s[8:9], 0, v75
	v_add_u32_e32 v75, 1, v74
	v_div_fmas_f32 v70, v70, v71, v73
	v_cndmask_b32_e64 v72, v74, v72, s[8:9]
	v_fma_f32 v74, -v75, v74, v9
	v_cmp_lt_f32_e64 s[8:9], 0, v74
	v_mul_f32_e32 v71, v47, v12
	v_mul_f32_e32 v71, v71, v12
	v_cndmask_b32_e64 v72, v72, v75, s[8:9]
	v_mul_f32_e32 v74, 0x37800000, v72
	v_cndmask_b32_e64 v72, v72, v74, s[6:7]
	v_cmp_class_f32_e64 s[6:7], v9, v67
	v_fmac_f32_e32 v71, s29, v6
	v_mul_f32_e32 v6, 0x4f800000, v71
	v_cndmask_b32_e64 v9, v72, v9, s[6:7]
	v_add_f32_e32 v9, s30, v9
	v_div_scale_f32 v72, s[6:7], v9, v9, v11
	v_rcp_f32_e32 v74, v72
	v_cmp_gt_f32_e64 s[6:7], s35, v71
	v_div_fixup_f32 v8, v70, v8, v10
	s_barrier
	v_fma_f32 v10, -v72, v74, 1.0
	v_cndmask_b32_e64 v6, v71, v6, s[6:7]
	v_fmac_f32_e32 v74, v10, v74
	v_div_scale_f32 v10, vcc, v11, v9, v11
	v_sqrt_f32_e32 v71, v6
	v_mul_f32_e32 v70, v10, v74
	v_fma_f32 v73, -v72, v70, v10
	v_fmac_f32_e32 v70, v73, v74
	v_fma_f32 v10, -v72, v70, v10
	v_add_u32_e32 v72, -1, v71
	v_fma_f32 v73, -v72, v71, v6
	v_cmp_ge_f32_e64 s[8:9], 0, v73
	v_add_u32_e32 v73, 1, v71
	v_div_fmas_f32 v10, v10, v74, v70
	v_cndmask_b32_e64 v72, v71, v72, s[8:9]
	v_fma_f32 v71, -v73, v71, v6
	v_cmp_lt_f32_e64 s[8:9], 0, v71
	v_mul_f32_e32 v70, v47, v13
	v_mul_f32_e32 v70, v70, v13
	v_cndmask_b32_e64 v71, v72, v73, s[8:9]
	v_mul_f32_e32 v72, 0x37800000, v71
	v_cndmask_b32_e64 v71, v71, v72, s[6:7]
	v_cmp_class_f32_e64 s[6:7], v6, v67
	v_fmac_f32_e32 v70, s29, v7
	v_mul_f32_e32 v7, 0x4f800000, v70
	v_cndmask_b32_e64 v6, v71, v6, s[6:7]
	v_add_f32_e32 v6, s30, v6
	v_div_scale_f32 v71, s[6:7], v6, v6, v12
	v_rcp_f32_e32 v72, v71
	v_cmp_gt_f32_e64 s[6:7], s35, v70
	v_div_fixup_f32 v9, v10, v9, v11
	v_mul_f32_e32 v9, v9, v9
	v_fma_f32 v10, -v71, v72, 1.0
	v_cndmask_b32_e64 v7, v70, v7, s[6:7]
	v_fmac_f32_e32 v72, v10, v72
	v_div_scale_f32 v10, vcc, v12, v6, v12
	v_sqrt_f32_e32 v70, v7
	v_mul_f32_e32 v11, v10, v72
	v_fma_f32 v73, -v71, v11, v10
	v_fmac_f32_e32 v11, v73, v72
	v_fma_f32 v10, -v71, v11, v10
	v_add_u32_e32 v71, -1, v70
	v_fma_f32 v73, -v71, v70, v7
	v_cmp_ge_f32_e64 s[8:9], 0, v73
	v_add_u32_e32 v73, 1, v70
	v_div_fmas_f32 v10, v10, v72, v11
	v_cndmask_b32_e64 v71, v70, v71, s[8:9]
	v_fma_f32 v70, -v73, v70, v7
	v_cmp_lt_f32_e64 s[8:9], 0, v70
	v_div_fixup_f32 v6, v10, v6, v12
	v_mul_f32_e32 v12, v47, v68
	v_cndmask_b32_e64 v70, v71, v73, s[8:9]
	v_mul_f32_e32 v71, 0x37800000, v70
	v_cndmask_b32_e64 v70, v70, v71, s[6:7]
	v_cmp_class_f32_e64 s[6:7], v7, v67
	v_mul_f32_e32 v12, v12, v68
	v_fmac_f32_e32 v12, s29, v4
	v_cndmask_b32_e64 v7, v70, v7, s[6:7]
	v_add_f32_e32 v7, s30, v7
	v_div_scale_f32 v70, s[6:7], v7, v7, v13
	v_rcp_f32_e32 v71, v70
	v_mul_f32_e32 v4, 0x4f800000, v12
	v_cmp_gt_f32_e64 s[6:7], s35, v12
	v_fmac_f32_e32 v9, v8, v8
	v_fma_f32 v10, -v70, v71, 1.0
	v_cndmask_b32_e64 v4, v12, v4, s[6:7]
	v_fmac_f32_e32 v71, v10, v71
	v_div_scale_f32 v10, vcc, v13, v7, v13
	v_sqrt_f32_e32 v12, v4
	v_mul_f32_e32 v11, v10, v71
	v_fma_f32 v72, -v70, v11, v10
	v_fmac_f32_e32 v11, v72, v71
	v_fma_f32 v10, -v70, v11, v10
	v_add_u32_e32 v70, -1, v12
	v_fma_f32 v72, -v70, v12, v4
	v_cmp_ge_f32_e64 s[8:9], 0, v72
	v_add_u32_e32 v72, 1, v12
	v_div_fmas_f32 v10, v10, v71, v11
	v_cndmask_b32_e64 v70, v12, v70, s[8:9]
	v_fma_f32 v12, -v72, v12, v4
	v_cmp_lt_f32_e64 s[8:9], 0, v12
	v_div_fixup_f32 v7, v10, v7, v13
	v_mul_f32_e32 v13, v47, v14
	v_cndmask_b32_e64 v12, v70, v72, s[8:9]
	v_mul_f32_e32 v70, 0x37800000, v12
	v_cndmask_b32_e64 v12, v12, v70, s[6:7]
	v_cmp_class_f32_e64 s[6:7], v4, v67
	v_mul_f32_e32 v13, v13, v14
	v_fmac_f32_e32 v13, s29, v5
	v_cndmask_b32_e64 v4, v12, v4, s[6:7]
	v_add_f32_e32 v4, s30, v4
	v_div_scale_f32 v12, s[6:7], v4, v4, v68
	v_rcp_f32_e32 v70, v12
	v_mul_f32_e32 v5, 0x4f800000, v13
	v_cmp_gt_f32_e64 s[6:7], s35, v13
	v_fmac_f32_e32 v9, v6, v6
	v_fma_f32 v10, -v12, v70, 1.0
	v_cndmask_b32_e64 v5, v13, v5, s[6:7]
	v_fmac_f32_e32 v70, v10, v70
	v_div_scale_f32 v10, vcc, v68, v4, v68
	v_sqrt_f32_e32 v13, v5
	v_mul_f32_e32 v11, v10, v70
	v_fma_f32 v71, -v12, v11, v10
	v_fmac_f32_e32 v11, v71, v70
	v_fma_f32 v10, -v12, v11, v10
	v_add_u32_e32 v12, -1, v13
	v_fma_f32 v71, -v12, v13, v5
	v_cmp_ge_f32_e64 s[8:9], 0, v71
	v_add_u32_e32 v71, 1, v13
	v_div_fmas_f32 v10, v10, v70, v11
	v_cndmask_b32_e64 v12, v13, v12, s[8:9]
	v_fma_f32 v13, -v71, v13, v5
	v_cmp_lt_f32_e64 s[8:9], 0, v13
	v_div_fixup_f32 v4, v10, v4, v68
	v_mul_f32_e32 v68, v47, v69
	v_cndmask_b32_e64 v12, v12, v71, s[8:9]
	v_mul_f32_e32 v13, 0x37800000, v12
	v_cndmask_b32_e64 v12, v12, v13, s[6:7]
	v_cmp_class_f32_e64 s[6:7], v5, v67
	v_mul_f32_e32 v68, v68, v69
	v_fmac_f32_e32 v68, s29, v0
	v_cndmask_b32_e64 v5, v12, v5, s[6:7]
	v_add_f32_e32 v5, s30, v5
	v_div_scale_f32 v12, s[6:7], v5, v5, v14
	v_rcp_f32_e32 v13, v12
	v_mul_f32_e32 v0, 0x4f800000, v68
	v_cmp_gt_f32_e64 s[6:7], s35, v68
	v_fmac_f32_e32 v9, v7, v7
	v_fma_f32 v10, -v12, v13, 1.0
	v_cndmask_b32_e64 v0, v68, v0, s[6:7]
	v_fmac_f32_e32 v13, v10, v13
	v_div_scale_f32 v10, vcc, v14, v5, v14
	v_sqrt_f32_e32 v68, v0
	v_mul_f32_e32 v11, v10, v13
	v_fma_f32 v70, -v12, v11, v10
	v_fmac_f32_e32 v11, v70, v13
	v_fma_f32 v10, -v12, v11, v10
	v_add_u32_e32 v12, -1, v68
	v_fma_f32 v70, -v12, v68, v0
	v_cmp_ge_f32_e64 s[8:9], 0, v70
	v_add_u32_e32 v70, 1, v68
	v_div_fmas_f32 v10, v10, v13, v11
	v_cndmask_b32_e64 v12, v68, v12, s[8:9]
	v_fma_f32 v68, -v70, v68, v0
	v_cmp_lt_f32_e64 s[8:9], 0, v68
	v_mul_f32_e32 v13, v47, v15
	v_mul_f32_e32 v13, v13, v15
	v_cndmask_b32_e64 v12, v12, v70, s[8:9]
	v_mul_f32_e32 v68, 0x37800000, v12
	v_cndmask_b32_e64 v12, v12, v68, s[6:7]
	v_cmp_class_f32_e64 s[6:7], v0, v67
	v_fmac_f32_e32 v13, s29, v1
	v_mul_f32_e32 v1, 0x4f800000, v13
	v_cndmask_b32_e64 v0, v12, v0, s[6:7]
	v_add_f32_e32 v0, s30, v0
	v_div_scale_f32 v12, s[6:7], v0, v0, v69
	v_rcp_f32_e32 v68, v12
	v_cmp_gt_f32_e64 s[6:7], s35, v13
	v_div_fixup_f32 v5, v10, v5, v14
	v_fmac_f32_e32 v9, v4, v4
	v_fma_f32 v10, -v12, v68, 1.0
	v_cndmask_b32_e64 v1, v13, v1, s[6:7]
	v_fmac_f32_e32 v68, v10, v68
	v_div_scale_f32 v10, vcc, v69, v0, v69
	v_sqrt_f32_e32 v13, v1
	v_mul_f32_e32 v11, v10, v68
	v_fma_f32 v14, -v12, v11, v10
	v_fmac_f32_e32 v11, v14, v68
	v_fma_f32 v10, -v12, v11, v10
	v_add_u32_e32 v12, -1, v13
	v_fma_f32 v14, -v12, v13, v1
	v_cmp_ge_f32_e64 s[8:9], 0, v14
	v_add_u32_e32 v14, 1, v13
	v_div_fmas_f32 v10, v10, v68, v11
	v_cndmask_b32_e64 v12, v13, v12, s[8:9]
	v_fma_f32 v13, -v14, v13, v1
	v_cmp_lt_f32_e64 s[8:9], 0, v13
	v_div_fixup_f32 v0, v10, v0, v69
	v_fmac_f32_e32 v9, v5, v5
	v_cndmask_b32_e64 v12, v12, v14, s[8:9]
	v_mul_f32_e32 v13, 0x37800000, v12
	v_cndmask_b32_e64 v12, v12, v13, s[6:7]
	v_cmp_class_f32_e64 s[6:7], v1, v67
	v_fmac_f32_e32 v9, v0, v0
	s_nop 0
	v_cndmask_b32_e64 v1, v12, v1, s[6:7]
	v_add_f32_e32 v1, s30, v1
	v_div_scale_f32 v12, s[6:7], v1, v1, v15
	v_rcp_f32_e32 v13, v12
	s_nop 0
	v_fma_f32 v10, -v12, v13, 1.0
	v_fmac_f32_e32 v13, v10, v13
	v_div_scale_f32 v10, vcc, v15, v1, v15
	v_mul_f32_e32 v11, v10, v13
	v_fma_f32 v14, -v12, v11, v10
	v_fmac_f32_e32 v11, v14, v13
	v_fma_f32 v10, -v12, v11, v10
	v_div_fmas_f32 v10, v10, v13, v11
	v_div_fixup_f32 v1, v10, v1, v15
	v_fmac_f32_e32 v9, v1, v1
	ds_bpermute_b32 v0, v48, v9
	v_sub_u32_e64 v1, s36, v36 clamp
	v_cmp_lt_u32_e32 vcc, v49, v1
	s_waitcnt lgkmcnt(0)
	v_add_f32_e32 v0, v9, v0
	v_cndmask_b32_e32 v0, v9, v0, vcc
	ds_bpermute_b32 v4, v50, v0
	v_cmp_lt_u32_e32 vcc, v51, v1
	s_waitcnt lgkmcnt(0)
	v_add_f32_e32 v4, v0, v4
	v_cndmask_b32_e32 v0, v0, v4, vcc
	ds_bpermute_b32 v4, v52, v0
	;; [unrolled: 5-line block ×5, first 2 shown]
	v_cmp_lt_u32_e32 vcc, v59, v1
	s_waitcnt lgkmcnt(0)
	v_add_f32_e32 v4, v0, v4
	v_cndmask_b32_e32 v0, v0, v4, vcc
	s_and_saveexec_b64 s[6:7], s[0:1]
	s_cbranch_execz .LBB43_62
; %bb.61:                               ;   in Loop: Header=BB43_3 Depth=1
	ds_write_b32 v60, v0
.LBB43_62:                              ;   in Loop: Header=BB43_3 Depth=1
	s_or_b64 exec, exec, s[6:7]
	s_waitcnt lgkmcnt(0)
	s_barrier
	s_and_saveexec_b64 s[8:9], s[2:3]
	s_cbranch_execz .LBB43_64
; %bb.63:                               ;   in Loop: Header=BB43_3 Depth=1
	ds_read_b32 v0, v2
	s_add_i32 s36, s36, 63
	s_lshr_b32 s10, s36, 6
	v_cmp_gt_u32_e32 vcc, s10, v61
	v_cmp_gt_u32_e64 s[6:7], s10, v63
	s_waitcnt lgkmcnt(0)
	ds_bpermute_b32 v1, v62, v0
	s_waitcnt lgkmcnt(0)
	v_add_f32_e32 v1, v0, v1
	v_cndmask_b32_e32 v1, v0, v1, vcc
	ds_bpermute_b32 v4, v64, v1
	s_waitcnt lgkmcnt(0)
	v_add_f32_e32 v4, v1, v4
	v_cndmask_b32_e64 v1, v1, v4, s[6:7]
	ds_bpermute_b32 v4, v66, v1
	v_cmp_gt_u32_e64 s[6:7], s10, v65
	s_waitcnt lgkmcnt(0)
	v_add_f32_e32 v4, v1, v4
	v_cndmask_b32_e64 v1, v1, v4, s[6:7]
	v_cndmask_b32_e32 v0, v0, v1, vcc
.LBB43_64:                              ;   in Loop: Header=BB43_3 Depth=1
	s_or_b64 exec, exec, s[8:9]
	s_and_saveexec_b64 s[6:7], s[4:5]
	s_cbranch_execz .LBB43_2
; %bb.65:                               ;   in Loop: Header=BB43_3 Depth=1
	s_mov_b64 s[8:9], exec
	v_bfrev_b32_e32 v1, 1
.LBB43_66:                              ;   Parent Loop BB43_3 Depth=1
                                        ; =>  This Inner Loop Header: Depth=2
	s_ff1_i32_b64 s10, s[8:9]
	v_readlane_b32 s12, v0, s10
	s_lshl_b64 s[10:11], 1, s10
	s_andn2_b64 s[8:9], s[8:9], s[10:11]
	s_cmp_lg_u64 s[8:9], 0
	v_add_f32_e32 v1, s12, v1
	s_cbranch_scc1 .LBB43_66
; %bb.67:                               ;   in Loop: Header=BB43_3 Depth=1
	v_mbcnt_lo_u32_b32 v0, exec_lo, 0
	v_mbcnt_hi_u32_b32 v0, exec_hi, v0
	v_cmp_eq_u32_e32 vcc, 0, v0
	s_and_saveexec_b64 s[8:9], vcc
	s_xor_b64 s[8:9], exec, s[8:9]
	s_cbranch_execz .LBB43_2
; %bb.68:                               ;   in Loop: Header=BB43_3 Depth=1
	global_atomic_add_f32 v3, v1, s[22:23]
	s_branch .LBB43_2
.LBB43_69:                              ;   in Loop: Header=BB43_3 Depth=1
	global_load_dword v68, v[0:1], off
	v_mov_b32_e32 v4, v3
	v_mov_b32_e32 v5, v3
	;; [unrolled: 1-line block ×6, first 2 shown]
	v_mov_b64_e32 v[10:11], v[8:9]
	v_mov_b64_e32 v[8:9], v[6:7]
	;; [unrolled: 1-line block ×4, first 2 shown]
	s_or_b64 exec, exec, s[20:21]
	s_and_saveexec_b64 s[18:19], s[14:15]
	s_cbranch_execz .LBB43_21
.LBB43_70:                              ;   in Loop: Header=BB43_3 Depth=1
	global_load_dword v5, v[0:1], off offset:256
	s_or_b64 exec, exec, s[18:19]
	s_and_saveexec_b64 s[14:15], s[16:17]
	s_cbranch_execz .LBB43_22
.LBB43_71:                              ;   in Loop: Header=BB43_3 Depth=1
	global_load_dword v6, v[0:1], off offset:512
	s_or_b64 exec, exec, s[14:15]
	s_and_saveexec_b64 s[14:15], s[10:11]
	s_cbranch_execz .LBB43_23
.LBB43_72:                              ;   in Loop: Header=BB43_3 Depth=1
	global_load_dword v7, v[0:1], off offset:768
	s_or_b64 exec, exec, s[14:15]
	s_and_saveexec_b64 s[10:11], s[12:13]
	s_cbranch_execz .LBB43_24
.LBB43_73:                              ;   in Loop: Header=BB43_3 Depth=1
	global_load_dword v8, v[0:1], off offset:1024
	s_or_b64 exec, exec, s[10:11]
	s_and_saveexec_b64 s[10:11], s[6:7]
	s_cbranch_execz .LBB43_25
.LBB43_74:                              ;   in Loop: Header=BB43_3 Depth=1
	global_load_dword v9, v[0:1], off offset:1280
	s_or_b64 exec, exec, s[10:11]
	s_and_saveexec_b64 s[6:7], s[8:9]
	s_cbranch_execz .LBB43_26
.LBB43_75:                              ;   in Loop: Header=BB43_3 Depth=1
	global_load_dword v10, v[0:1], off offset:1536
	s_or_b64 exec, exec, s[6:7]
	s_and_saveexec_b64 s[6:7], vcc
	s_cbranch_execnz .LBB43_27
	s_branch .LBB43_28
.LBB43_76:
	s_endpgm
	.section	.rodata,"a",@progbits
	.p2align	6, 0x0
	.amdhsa_kernel _Z33kPreconditionOptimizer32bit1StateI12hip_bfloat16Li2ELi4096ELi8EEvPT_S2_PfS3_ffffiffi
		.amdhsa_group_segment_fixed_size 16896
		.amdhsa_private_segment_fixed_size 0
		.amdhsa_kernarg_size 320
		.amdhsa_user_sgpr_count 2
		.amdhsa_user_sgpr_dispatch_ptr 0
		.amdhsa_user_sgpr_queue_ptr 0
		.amdhsa_user_sgpr_kernarg_segment_ptr 1
		.amdhsa_user_sgpr_dispatch_id 0
		.amdhsa_user_sgpr_kernarg_preload_length 0
		.amdhsa_user_sgpr_kernarg_preload_offset 0
		.amdhsa_user_sgpr_private_segment_size 0
		.amdhsa_uses_dynamic_stack 0
		.amdhsa_enable_private_segment 0
		.amdhsa_system_sgpr_workgroup_id_x 1
		.amdhsa_system_sgpr_workgroup_id_y 0
		.amdhsa_system_sgpr_workgroup_id_z 0
		.amdhsa_system_sgpr_workgroup_info 0
		.amdhsa_system_vgpr_workitem_id 0
		.amdhsa_next_free_vgpr 76
		.amdhsa_next_free_sgpr 48
		.amdhsa_accum_offset 76
		.amdhsa_reserve_vcc 1
		.amdhsa_float_round_mode_32 0
		.amdhsa_float_round_mode_16_64 0
		.amdhsa_float_denorm_mode_32 3
		.amdhsa_float_denorm_mode_16_64 3
		.amdhsa_dx10_clamp 1
		.amdhsa_ieee_mode 1
		.amdhsa_fp16_overflow 0
		.amdhsa_tg_split 0
		.amdhsa_exception_fp_ieee_invalid_op 0
		.amdhsa_exception_fp_denorm_src 0
		.amdhsa_exception_fp_ieee_div_zero 0
		.amdhsa_exception_fp_ieee_overflow 0
		.amdhsa_exception_fp_ieee_underflow 0
		.amdhsa_exception_fp_ieee_inexact 0
		.amdhsa_exception_int_div_zero 0
	.end_amdhsa_kernel
	.section	.text._Z33kPreconditionOptimizer32bit1StateI12hip_bfloat16Li2ELi4096ELi8EEvPT_S2_PfS3_ffffiffi,"axG",@progbits,_Z33kPreconditionOptimizer32bit1StateI12hip_bfloat16Li2ELi4096ELi8EEvPT_S2_PfS3_ffffiffi,comdat
.Lfunc_end43:
	.size	_Z33kPreconditionOptimizer32bit1StateI12hip_bfloat16Li2ELi4096ELi8EEvPT_S2_PfS3_ffffiffi, .Lfunc_end43-_Z33kPreconditionOptimizer32bit1StateI12hip_bfloat16Li2ELi4096ELi8EEvPT_S2_PfS3_ffffiffi
                                        ; -- End function
	.section	.AMDGPU.csdata,"",@progbits
; Kernel info:
; codeLenInByte = 4460
; NumSgprs: 54
; NumVgprs: 76
; NumAgprs: 0
; TotalNumVgprs: 76
; ScratchSize: 0
; MemoryBound: 0
; FloatMode: 240
; IeeeMode: 1
; LDSByteSize: 16896 bytes/workgroup (compile time only)
; SGPRBlocks: 6
; VGPRBlocks: 9
; NumSGPRsForWavesPerEU: 54
; NumVGPRsForWavesPerEU: 76
; AccumOffset: 76
; Occupancy: 6
; WaveLimiterHint : 0
; COMPUTE_PGM_RSRC2:SCRATCH_EN: 0
; COMPUTE_PGM_RSRC2:USER_SGPR: 2
; COMPUTE_PGM_RSRC2:TRAP_HANDLER: 0
; COMPUTE_PGM_RSRC2:TGID_X_EN: 1
; COMPUTE_PGM_RSRC2:TGID_Y_EN: 0
; COMPUTE_PGM_RSRC2:TGID_Z_EN: 0
; COMPUTE_PGM_RSRC2:TIDIG_COMP_CNT: 0
; COMPUTE_PGM_RSRC3_GFX90A:ACCUM_OFFSET: 18
; COMPUTE_PGM_RSRC3_GFX90A:TG_SPLIT: 0
	.section	.text._Z33kPreconditionOptimizer32bit1StateI6__halfLi5ELi4096ELi8EEvPT_S2_PfS3_ffffiffi,"axG",@progbits,_Z33kPreconditionOptimizer32bit1StateI6__halfLi5ELi4096ELi8EEvPT_S2_PfS3_ffffiffi,comdat
